;; amdgpu-corpus repo=ROCm/rocFFT kind=compiled arch=gfx906 opt=O3
	.text
	.amdgcn_target "amdgcn-amd-amdhsa--gfx906"
	.amdhsa_code_object_version 6
	.protected	fft_rtc_fwd_len1210_factors_2_5_11_11_wgs_110_tpt_110_halfLds_half_ip_CI_unitstride_sbrr_dirReg ; -- Begin function fft_rtc_fwd_len1210_factors_2_5_11_11_wgs_110_tpt_110_halfLds_half_ip_CI_unitstride_sbrr_dirReg
	.globl	fft_rtc_fwd_len1210_factors_2_5_11_11_wgs_110_tpt_110_halfLds_half_ip_CI_unitstride_sbrr_dirReg
	.p2align	8
	.type	fft_rtc_fwd_len1210_factors_2_5_11_11_wgs_110_tpt_110_halfLds_half_ip_CI_unitstride_sbrr_dirReg,@function
fft_rtc_fwd_len1210_factors_2_5_11_11_wgs_110_tpt_110_halfLds_half_ip_CI_unitstride_sbrr_dirReg: ; @fft_rtc_fwd_len1210_factors_2_5_11_11_wgs_110_tpt_110_halfLds_half_ip_CI_unitstride_sbrr_dirReg
; %bb.0:
	s_load_dwordx2 s[12:13], s[4:5], 0x50
	s_load_dwordx4 s[8:11], s[4:5], 0x0
	s_load_dwordx2 s[2:3], s[4:5], 0x18
	v_mul_u32_u24_e32 v1, 0x254, v0
	v_add_u32_sdwa v5, s6, v1 dst_sel:DWORD dst_unused:UNUSED_PAD src0_sel:DWORD src1_sel:WORD_1
	v_mov_b32_e32 v3, 0
	s_waitcnt lgkmcnt(0)
	v_cmp_lt_u64_e64 s[0:1], s[10:11], 2
	v_mov_b32_e32 v1, 0
	v_mov_b32_e32 v6, v3
	s_and_b64 vcc, exec, s[0:1]
	v_mov_b32_e32 v2, 0
	s_cbranch_vccnz .LBB0_8
; %bb.1:
	s_load_dwordx2 s[0:1], s[4:5], 0x10
	s_add_u32 s6, s2, 8
	s_addc_u32 s7, s3, 0
	v_mov_b32_e32 v1, 0
	v_mov_b32_e32 v2, 0
	s_waitcnt lgkmcnt(0)
	s_add_u32 s14, s0, 8
	s_addc_u32 s15, s1, 0
	s_mov_b64 s[16:17], 1
.LBB0_2:                                ; =>This Inner Loop Header: Depth=1
	s_load_dwordx2 s[18:19], s[14:15], 0x0
                                        ; implicit-def: $vgpr7_vgpr8
	s_waitcnt lgkmcnt(0)
	v_or_b32_e32 v4, s19, v6
	v_cmp_ne_u64_e32 vcc, 0, v[3:4]
	s_and_saveexec_b64 s[0:1], vcc
	s_xor_b64 s[20:21], exec, s[0:1]
	s_cbranch_execz .LBB0_4
; %bb.3:                                ;   in Loop: Header=BB0_2 Depth=1
	v_cvt_f32_u32_e32 v4, s18
	v_cvt_f32_u32_e32 v7, s19
	s_sub_u32 s0, 0, s18
	s_subb_u32 s1, 0, s19
	v_mac_f32_e32 v4, 0x4f800000, v7
	v_rcp_f32_e32 v4, v4
	v_mul_f32_e32 v4, 0x5f7ffffc, v4
	v_mul_f32_e32 v7, 0x2f800000, v4
	v_trunc_f32_e32 v7, v7
	v_mac_f32_e32 v4, 0xcf800000, v7
	v_cvt_u32_f32_e32 v7, v7
	v_cvt_u32_f32_e32 v4, v4
	v_mul_lo_u32 v8, s0, v7
	v_mul_hi_u32 v9, s0, v4
	v_mul_lo_u32 v11, s1, v4
	v_mul_lo_u32 v10, s0, v4
	v_add_u32_e32 v8, v9, v8
	v_add_u32_e32 v8, v8, v11
	v_mul_hi_u32 v9, v4, v10
	v_mul_lo_u32 v11, v4, v8
	v_mul_hi_u32 v13, v4, v8
	v_mul_hi_u32 v12, v7, v10
	v_mul_lo_u32 v10, v7, v10
	v_mul_hi_u32 v14, v7, v8
	v_add_co_u32_e32 v9, vcc, v9, v11
	v_addc_co_u32_e32 v11, vcc, 0, v13, vcc
	v_mul_lo_u32 v8, v7, v8
	v_add_co_u32_e32 v9, vcc, v9, v10
	v_addc_co_u32_e32 v9, vcc, v11, v12, vcc
	v_addc_co_u32_e32 v10, vcc, 0, v14, vcc
	v_add_co_u32_e32 v8, vcc, v9, v8
	v_addc_co_u32_e32 v9, vcc, 0, v10, vcc
	v_add_co_u32_e32 v4, vcc, v4, v8
	v_addc_co_u32_e32 v7, vcc, v7, v9, vcc
	v_mul_lo_u32 v8, s0, v7
	v_mul_hi_u32 v9, s0, v4
	v_mul_lo_u32 v10, s1, v4
	v_mul_lo_u32 v11, s0, v4
	v_add_u32_e32 v8, v9, v8
	v_add_u32_e32 v8, v8, v10
	v_mul_lo_u32 v12, v4, v8
	v_mul_hi_u32 v13, v4, v11
	v_mul_hi_u32 v14, v4, v8
	;; [unrolled: 1-line block ×3, first 2 shown]
	v_mul_lo_u32 v11, v7, v11
	v_mul_hi_u32 v9, v7, v8
	v_add_co_u32_e32 v12, vcc, v13, v12
	v_addc_co_u32_e32 v13, vcc, 0, v14, vcc
	v_mul_lo_u32 v8, v7, v8
	v_add_co_u32_e32 v11, vcc, v12, v11
	v_addc_co_u32_e32 v10, vcc, v13, v10, vcc
	v_addc_co_u32_e32 v9, vcc, 0, v9, vcc
	v_add_co_u32_e32 v8, vcc, v10, v8
	v_addc_co_u32_e32 v9, vcc, 0, v9, vcc
	v_add_co_u32_e32 v4, vcc, v4, v8
	v_addc_co_u32_e32 v9, vcc, v7, v9, vcc
	v_mad_u64_u32 v[7:8], s[0:1], v5, v9, 0
	v_mul_hi_u32 v10, v5, v4
	v_add_co_u32_e32 v11, vcc, v10, v7
	v_addc_co_u32_e32 v12, vcc, 0, v8, vcc
	v_mad_u64_u32 v[7:8], s[0:1], v6, v4, 0
	v_mad_u64_u32 v[9:10], s[0:1], v6, v9, 0
	v_add_co_u32_e32 v4, vcc, v11, v7
	v_addc_co_u32_e32 v4, vcc, v12, v8, vcc
	v_addc_co_u32_e32 v7, vcc, 0, v10, vcc
	v_add_co_u32_e32 v4, vcc, v4, v9
	v_addc_co_u32_e32 v9, vcc, 0, v7, vcc
	v_mul_lo_u32 v10, s19, v4
	v_mul_lo_u32 v11, s18, v9
	v_mad_u64_u32 v[7:8], s[0:1], s18, v4, 0
	v_add3_u32 v8, v8, v11, v10
	v_sub_u32_e32 v10, v6, v8
	v_mov_b32_e32 v11, s19
	v_sub_co_u32_e32 v7, vcc, v5, v7
	v_subb_co_u32_e64 v10, s[0:1], v10, v11, vcc
	v_subrev_co_u32_e64 v11, s[0:1], s18, v7
	v_subbrev_co_u32_e64 v10, s[0:1], 0, v10, s[0:1]
	v_cmp_le_u32_e64 s[0:1], s19, v10
	v_cndmask_b32_e64 v12, 0, -1, s[0:1]
	v_cmp_le_u32_e64 s[0:1], s18, v11
	v_cndmask_b32_e64 v11, 0, -1, s[0:1]
	v_cmp_eq_u32_e64 s[0:1], s19, v10
	v_cndmask_b32_e64 v10, v12, v11, s[0:1]
	v_add_co_u32_e64 v11, s[0:1], 2, v4
	v_addc_co_u32_e64 v12, s[0:1], 0, v9, s[0:1]
	v_add_co_u32_e64 v13, s[0:1], 1, v4
	v_addc_co_u32_e64 v14, s[0:1], 0, v9, s[0:1]
	v_subb_co_u32_e32 v8, vcc, v6, v8, vcc
	v_cmp_ne_u32_e64 s[0:1], 0, v10
	v_cmp_le_u32_e32 vcc, s19, v8
	v_cndmask_b32_e64 v10, v14, v12, s[0:1]
	v_cndmask_b32_e64 v12, 0, -1, vcc
	v_cmp_le_u32_e32 vcc, s18, v7
	v_cndmask_b32_e64 v7, 0, -1, vcc
	v_cmp_eq_u32_e32 vcc, s19, v8
	v_cndmask_b32_e32 v7, v12, v7, vcc
	v_cmp_ne_u32_e32 vcc, 0, v7
	v_cndmask_b32_e64 v7, v13, v11, s[0:1]
	v_cndmask_b32_e32 v8, v9, v10, vcc
	v_cndmask_b32_e32 v7, v4, v7, vcc
.LBB0_4:                                ;   in Loop: Header=BB0_2 Depth=1
	s_andn2_saveexec_b64 s[0:1], s[20:21]
	s_cbranch_execz .LBB0_6
; %bb.5:                                ;   in Loop: Header=BB0_2 Depth=1
	v_cvt_f32_u32_e32 v4, s18
	s_sub_i32 s20, 0, s18
	v_rcp_iflag_f32_e32 v4, v4
	v_mul_f32_e32 v4, 0x4f7ffffe, v4
	v_cvt_u32_f32_e32 v4, v4
	v_mul_lo_u32 v7, s20, v4
	v_mul_hi_u32 v7, v4, v7
	v_add_u32_e32 v4, v4, v7
	v_mul_hi_u32 v4, v5, v4
	v_mul_lo_u32 v7, v4, s18
	v_add_u32_e32 v8, 1, v4
	v_sub_u32_e32 v7, v5, v7
	v_subrev_u32_e32 v9, s18, v7
	v_cmp_le_u32_e32 vcc, s18, v7
	v_cndmask_b32_e32 v7, v7, v9, vcc
	v_cndmask_b32_e32 v4, v4, v8, vcc
	v_add_u32_e32 v8, 1, v4
	v_cmp_le_u32_e32 vcc, s18, v7
	v_cndmask_b32_e32 v7, v4, v8, vcc
	v_mov_b32_e32 v8, v3
.LBB0_6:                                ;   in Loop: Header=BB0_2 Depth=1
	s_or_b64 exec, exec, s[0:1]
	v_mul_lo_u32 v4, v8, s18
	v_mul_lo_u32 v11, v7, s19
	v_mad_u64_u32 v[9:10], s[0:1], v7, s18, 0
	s_load_dwordx2 s[0:1], s[6:7], 0x0
	s_add_u32 s16, s16, 1
	v_add3_u32 v4, v10, v11, v4
	v_sub_co_u32_e32 v5, vcc, v5, v9
	v_subb_co_u32_e32 v4, vcc, v6, v4, vcc
	s_waitcnt lgkmcnt(0)
	v_mul_lo_u32 v4, s0, v4
	v_mul_lo_u32 v6, s1, v5
	v_mad_u64_u32 v[1:2], s[0:1], s0, v5, v[1:2]
	s_addc_u32 s17, s17, 0
	s_add_u32 s6, s6, 8
	v_add3_u32 v2, v6, v2, v4
	v_mov_b32_e32 v4, s10
	v_mov_b32_e32 v5, s11
	s_addc_u32 s7, s7, 0
	v_cmp_ge_u64_e32 vcc, s[16:17], v[4:5]
	s_add_u32 s14, s14, 8
	s_addc_u32 s15, s15, 0
	s_cbranch_vccnz .LBB0_9
; %bb.7:                                ;   in Loop: Header=BB0_2 Depth=1
	v_mov_b32_e32 v5, v7
	v_mov_b32_e32 v6, v8
	s_branch .LBB0_2
.LBB0_8:
	v_mov_b32_e32 v8, v6
	v_mov_b32_e32 v7, v5
.LBB0_9:
	s_lshl_b64 s[0:1], s[10:11], 3
	s_add_u32 s0, s2, s0
	s_addc_u32 s1, s3, s1
	s_load_dwordx2 s[2:3], s[0:1], 0x0
	s_load_dwordx2 s[6:7], s[4:5], 0x20
                                        ; implicit-def: $vgpr11
                                        ; implicit-def: $vgpr15
                                        ; implicit-def: $vgpr26
                                        ; implicit-def: $vgpr12
                                        ; implicit-def: $vgpr27
                                        ; implicit-def: $vgpr9
                                        ; implicit-def: $vgpr28
                                        ; implicit-def: $vgpr13
                                        ; implicit-def: $vgpr29
                                        ; implicit-def: $vgpr14
                                        ; implicit-def: $vgpr30
                                        ; implicit-def: $vgpr16
                                        ; implicit-def: $vgpr31
                                        ; implicit-def: $vgpr18
                                        ; implicit-def: $vgpr32
                                        ; implicit-def: $vgpr17
                                        ; implicit-def: $vgpr33
                                        ; implicit-def: $vgpr19
                                        ; implicit-def: $vgpr10
                                        ; implicit-def: $vgpr20
	s_waitcnt lgkmcnt(0)
	v_mad_u64_u32 v[4:5], s[0:1], s2, v7, v[1:2]
	s_mov_b32 s0, 0x253c826
	v_mul_lo_u32 v3, s2, v8
	v_mul_lo_u32 v6, s3, v7
	v_mul_hi_u32 v1, v0, s0
	v_cmp_gt_u64_e64 s[0:1], s[6:7], v[7:8]
	v_mov_b32_e32 v7, 0
	v_add3_u32 v5, v6, v5, v3
	v_mul_u32_u24_e32 v1, 0x6e, v1
	v_sub_u32_e32 v3, v0, v1
	v_lshlrev_b64 v[0:1], 2, v[4:5]
	v_mov_b32_e32 v2, 0
	v_mov_b32_e32 v4, 0
                                        ; implicit-def: $vgpr6
                                        ; implicit-def: $vgpr8
	s_and_saveexec_b64 s[2:3], s[0:1]
	s_cbranch_execz .LBB0_13
; %bb.10:
	v_mov_b32_e32 v4, 0
	v_mov_b32_e32 v2, s13
	v_add_co_u32_e32 v7, vcc, s12, v0
	v_lshlrev_b64 v[5:6], 2, v[3:4]
	v_addc_co_u32_e32 v2, vcc, v2, v1, vcc
	v_add_co_u32_e32 v5, vcc, v7, v5
	v_addc_co_u32_e32 v6, vcc, v2, v6, vcc
	global_load_dword v9, v[5:6], off offset:2860
	global_load_dword v14, v[5:6], off offset:3300
	global_load_dword v8, v[5:6], off
	global_load_dword v12, v[5:6], off offset:440
	global_load_dword v13, v[5:6], off offset:880
	;; [unrolled: 1-line block ×5, first 2 shown]
	v_add_co_u32_e32 v10, vcc, 0x1000, v5
	v_addc_co_u32_e32 v11, vcc, 0, v6, vcc
	global_load_dword v18, v[5:6], off offset:3740
	global_load_dword v19, v[10:11], off offset:84
	v_cmp_gt_u32_e32 vcc, 55, v3
	v_mov_b32_e32 v7, v4
                                        ; implicit-def: $vgpr20
                                        ; implicit-def: $vgpr10
	s_and_saveexec_b64 s[4:5], vcc
	s_cbranch_execz .LBB0_12
; %bb.11:
	v_add_co_u32_e32 v10, vcc, 0x1000, v5
	v_addc_co_u32_e32 v11, vcc, 0, v6, vcc
	global_load_dword v4, v[5:6], off offset:2200
	global_load_dword v20, v[10:11], off offset:524
	s_waitcnt vmcnt(1)
	v_lshrrev_b32_e32 v7, 16, v4
	s_waitcnt vmcnt(0)
	v_lshrrev_b32_e32 v10, 16, v20
.LBB0_12:
	s_or_b64 exec, exec, s[4:5]
	s_waitcnt vmcnt(7)
	v_lshrrev_b32_e32 v6, 16, v8
	s_waitcnt vmcnt(3)
	v_lshrrev_b32_e32 v11, 16, v15
	v_lshrrev_b32_e32 v26, 16, v12
	;; [unrolled: 1-line block ×6, first 2 shown]
	s_waitcnt vmcnt(1)
	v_lshrrev_b32_e32 v31, 16, v18
	v_lshrrev_b32_e32 v32, 16, v17
	s_waitcnt vmcnt(0)
	v_lshrrev_b32_e32 v33, 16, v19
	v_mov_b32_e32 v2, v3
.LBB0_13:
	s_or_b64 exec, exec, s[2:3]
	v_sub_f16_e32 v15, v8, v15
	v_fma_f16 v8, v8, 2.0, -v15
	v_sub_f16_e32 v21, v12, v9
	v_fma_f16 v12, v12, 2.0, -v21
	v_lshl_add_u32 v34, v3, 2, 0
	v_pack_b32_f16 v8, v8, v15
	v_add_u32_e32 v9, 0x6e, v3
	v_sub_f16_e32 v14, v13, v14
	ds_write_b32 v34, v8
	v_lshl_add_u32 v36, v9, 2, 0
	v_pack_b32_f16 v8, v12, v21
	v_fma_f16 v22, v13, 2.0, -v14
	v_sub_f16_e32 v18, v16, v18
	v_sub_f16_e32 v19, v17, v19
	ds_write_b32 v36, v8
	v_add_u32_e32 v8, 0xdc, v3
	v_fma_f16 v16, v16, 2.0, -v18
	v_fma_f16 v17, v17, 2.0, -v19
	v_lshl_add_u32 v37, v8, 2, 0
	v_pack_b32_f16 v12, v22, v14
	ds_write_b32 v37, v12
	v_pack_b32_f16 v12, v16, v18
	v_pack_b32_f16 v14, v17, v19
	v_add_u32_e32 v15, 0x400, v34
	v_sub_f16_e32 v13, v4, v20
	ds_write2_b32 v15, v12, v14 offset0:74 offset1:184
	v_add_u32_e32 v12, 0x226, v3
	v_fma_f16 v5, v4, 2.0, -v13
	v_lshlrev_b32_e32 v4, 1, v3
	v_cmp_gt_u32_e64 s[2:3], 55, v3
	v_lshl_add_u32 v35, v12, 2, 0
	s_and_saveexec_b64 s[4:5], s[2:3]
	s_cbranch_execz .LBB0_15
; %bb.14:
	s_mov_b32 s6, 0x5040100
	v_perm_b32 v12, v13, v5, s6
	ds_write_b32 v35, v12
.LBB0_15:
	s_or_b64 exec, exec, s[4:5]
	v_sub_u32_e32 v17, v34, v4
	s_waitcnt lgkmcnt(0)
	s_barrier
	ds_read_u16 v14, v17
	ds_read_u16 v15, v17 offset:1672
	ds_read_u16 v19, v17 offset:1452
	;; [unrolled: 1-line block ×9, first 2 shown]
	v_sub_u32_e32 v4, 0, v4
	v_add_u32_e32 v38, 0x528, v34
	v_add_u32_e32 v39, 0x6e0, v34
	v_cmp_gt_u32_e32 vcc, 22, v3
	v_add_u32_e32 v4, v34, v4
                                        ; implicit-def: $vgpr21
                                        ; implicit-def: $vgpr20
                                        ; implicit-def: $vgpr24
	s_and_saveexec_b64 s[4:5], vcc
	s_cbranch_execz .LBB0_17
; %bb.16:
	ds_read_u16 v5, v4 offset:440
	ds_read_u16 v13, v4 offset:924
	;; [unrolled: 1-line block ×5, first 2 shown]
.LBB0_17:
	s_or_b64 exec, exec, s[4:5]
	v_sub_f16_e32 v11, v6, v11
	v_sub_f16_e32 v27, v26, v27
	v_fma_f16 v40, v6, 2.0, -v11
	v_fma_f16 v41, v26, 2.0, -v27
	v_sub_f16_e32 v26, v7, v10
	v_sub_f16_e32 v29, v28, v29
	v_fma_f16 v6, v7, 2.0, -v26
	v_pack_b32_f16 v7, v40, v11
	v_fma_f16 v28, v28, 2.0, -v29
	v_sub_f16_e32 v31, v30, v31
	s_waitcnt lgkmcnt(0)
	s_barrier
	ds_write_b32 v34, v7
	v_pack_b32_f16 v7, v41, v27
	v_fma_f16 v30, v30, 2.0, -v31
	v_sub_f16_e32 v33, v32, v33
	ds_write_b32 v36, v7
	v_pack_b32_f16 v7, v28, v29
	v_fma_f16 v32, v32, 2.0, -v33
	ds_write_b32 v37, v7
	v_pack_b32_f16 v7, v30, v31
	ds_write_b32 v38, v7
	v_pack_b32_f16 v7, v32, v33
	ds_write_b32 v39, v7
	s_and_saveexec_b64 s[4:5], s[2:3]
	s_cbranch_execz .LBB0_19
; %bb.18:
	s_mov_b32 s2, 0x5040100
	v_perm_b32 v7, v26, v6, s2
	ds_write_b32 v35, v7
.LBB0_19:
	s_or_b64 exec, exec, s[4:5]
	s_waitcnt lgkmcnt(0)
	s_barrier
	ds_read_u16 v11, v4
	ds_read_u16 v27, v4 offset:1672
	ds_read_u16 v28, v4 offset:1452
	;; [unrolled: 1-line block ×9, first 2 shown]
                                        ; implicit-def: $vgpr36
                                        ; implicit-def: $vgpr42
                                        ; implicit-def: $vgpr43
	s_and_saveexec_b64 s[2:3], vcc
	s_cbranch_execz .LBB0_21
; %bb.20:
	ds_read_u16 v6, v4 offset:440
	ds_read_u16 v26, v4 offset:924
	;; [unrolled: 1-line block ×5, first 2 shown]
.LBB0_21:
	s_or_b64 exec, exec, s[2:3]
	v_and_b32_e32 v7, 1, v3
	v_lshlrev_b32_e32 v33, 4, v7
	global_load_dwordx4 v[44:47], v33, s[8:9]
	s_movk_i32 s5, 0x3b9c
	s_mov_b32 s7, 0xbb9c
	s_movk_i32 s4, 0x38b4
	s_mov_b32 s10, 0xb8b4
	s_movk_i32 s6, 0x34f2
	v_lshrrev_b32_e32 v9, 1, v9
	v_mul_u32_u24_e32 v9, 10, v9
	v_or_b32_e32 v9, v9, v7
	s_waitcnt vmcnt(0) lgkmcnt(0)
	s_barrier
	v_mul_f16_sdwa v33, v31, v44 dst_sel:DWORD dst_unused:UNUSED_PAD src0_sel:DWORD src1_sel:WORD_1
	v_mul_f16_sdwa v38, v32, v45 dst_sel:DWORD dst_unused:UNUSED_PAD src0_sel:DWORD src1_sel:WORD_1
	;; [unrolled: 1-line block ×12, first 2 shown]
	v_fma_f16 v37, v25, v44, -v33
	v_fma_f16 v38, v22, v45, -v38
	v_fma_f16 v33, v32, v45, v39
	v_fma_f16 v39, v19, v46, -v40
	v_fma_f16 v40, v23, v47, -v49
	v_mul_f16_sdwa v53, v30, v45 dst_sel:DWORD dst_unused:UNUSED_PAD src0_sel:DWORD src1_sel:WORD_1
	v_mul_f16_sdwa v54, v16, v45 dst_sel:DWORD dst_unused:UNUSED_PAD src0_sel:DWORD src1_sel:WORD_1
	;; [unrolled: 1-line block ×12, first 2 shown]
	v_fma_f16 v31, v31, v44, v34
	v_fma_f16 v34, v28, v46, v48
	;; [unrolled: 1-line block ×3, first 2 shown]
	v_fma_f16 v28, v18, v44, -v51
	v_fma_f16 v22, v29, v44, v52
	v_fma_f16 v19, v13, v44, -v59
	v_fma_f16 v13, v26, v44, v60
	v_add_f16_e32 v26, v38, v39
	v_add_f16_e32 v44, v37, v40
	v_fma_f16 v29, v16, v45, -v53
	v_fma_f16 v23, v30, v45, v54
	v_fma_f16 v30, v15, v46, -v55
	v_fma_f16 v25, v27, v46, v56
	;; [unrolled: 2-line block ×6, first 2 shown]
	v_add_f16_e32 v24, v14, v37
	v_sub_f16_e32 v36, v31, v35
	v_sub_f16_e32 v41, v33, v34
	;; [unrolled: 1-line block ×6, first 2 shown]
	v_add_f16_e32 v47, v12, v28
	v_fma_f16 v26, v26, -0.5, v14
	v_fma_f16 v14, v44, -0.5, v14
	v_add_f16_e32 v42, v42, v43
	v_add_f16_e32 v43, v45, v46
	;; [unrolled: 1-line block ×3, first 2 shown]
	v_fma_f16 v45, v36, s5, v26
	v_fma_f16 v26, v36, s7, v26
	;; [unrolled: 1-line block ×4, first 2 shown]
	v_add_f16_e32 v48, v29, v30
	v_add_f16_e32 v44, v44, v30
	v_fma_f16 v45, v41, s4, v45
	v_fma_f16 v26, v41, s10, v26
	;; [unrolled: 1-line block ×4, first 2 shown]
	v_add_f16_e32 v36, v44, v32
	v_fma_f16 v44, v42, s6, v45
	v_fma_f16 v26, v42, s6, v26
	;; [unrolled: 1-line block ×4, first 2 shown]
	v_fma_f16 v41, v48, -0.5, v12
	v_sub_f16_e32 v43, v22, v27
	v_fma_f16 v45, v43, s5, v41
	v_sub_f16_e32 v46, v23, v25
	v_sub_f16_e32 v47, v28, v29
	;; [unrolled: 1-line block ×3, first 2 shown]
	v_fma_f16 v41, v43, s7, v41
	v_fma_f16 v45, v46, s4, v45
	v_add_f16_e32 v47, v47, v48
	v_fma_f16 v41, v46, s10, v41
	v_fma_f16 v45, v47, s6, v45
	;; [unrolled: 1-line block ×3, first 2 shown]
	v_add_f16_e32 v41, v28, v32
	v_fma_f16 v12, v41, -0.5, v12
	v_fma_f16 v41, v46, s7, v12
	v_sub_f16_e32 v48, v29, v28
	v_sub_f16_e32 v49, v30, v32
	v_fma_f16 v41, v43, s4, v41
	v_add_f16_e32 v48, v48, v49
	v_fma_f16 v49, v48, s6, v41
	v_lshrrev_b32_e32 v41, 1, v3
	v_add_f16_e32 v24, v24, v38
	v_mul_u32_u24_e32 v41, 10, v41
	v_add_f16_e32 v24, v24, v39
	v_or_b32_e32 v41, v41, v7
	v_add_f16_e32 v24, v24, v40
	v_fma_f16 v12, v46, s5, v12
	v_lshl_add_u32 v41, v41, 1, 0
	v_fma_f16 v12, v43, s10, v12
	ds_write_b16 v41, v24
	ds_write_b16 v41, v44 offset:4
	ds_write_b16 v41, v42 offset:8
	;; [unrolled: 1-line block ×4, first 2 shown]
	v_lshl_add_u32 v42, v9, 1, 0
	v_fma_f16 v12, v48, s6, v12
	ds_write_b16 v42, v36
	ds_write_b16 v42, v45 offset:4
	ds_write_b16 v42, v49 offset:8
	;; [unrolled: 1-line block ×4, first 2 shown]
	v_lshrrev_b32_e32 v36, 1, v8
	s_and_saveexec_b64 s[2:3], vcc
	s_cbranch_execz .LBB0_23
; %bb.22:
	v_sub_f16_e32 v8, v18, v19
	v_sub_f16_e32 v9, v20, v21
	v_add_f16_e32 v8, v8, v9
	v_add_f16_e32 v9, v19, v21
	v_fma_f16 v9, v9, -0.5, v5
	v_sub_f16_e32 v12, v15, v16
	v_fma_f16 v14, v12, s5, v9
	v_sub_f16_e32 v24, v13, v17
	v_fma_f16 v9, v12, s7, v9
	v_fma_f16 v14, v24, s10, v14
	;; [unrolled: 1-line block ×5, first 2 shown]
	v_sub_f16_e32 v9, v19, v18
	v_sub_f16_e32 v26, v21, v20
	v_add_f16_e32 v9, v9, v26
	v_add_f16_e32 v26, v18, v20
	v_fma_f16 v26, v26, -0.5, v5
	v_fma_f16 v43, v24, s7, v26
	v_fma_f16 v24, v24, s5, v26
	;; [unrolled: 1-line block ×4, first 2 shown]
	v_add_f16_e32 v5, v5, v19
	v_fma_f16 v43, v9, s6, v43
	v_fma_f16 v9, v9, s6, v12
	v_add_f16_e32 v5, v5, v18
	v_mul_u32_u24_e32 v12, 10, v36
	v_add_f16_e32 v5, v5, v20
	v_or_b32_e32 v12, v12, v7
	v_add_f16_e32 v5, v5, v21
	v_lshl_add_u32 v12, v12, 1, 0
	ds_write_b16 v12, v5
	ds_write_b16 v12, v9 offset:4
	ds_write_b16 v12, v8 offset:8
	;; [unrolled: 1-line block ×4, first 2 shown]
.LBB0_23:
	s_or_b64 exec, exec, s[2:3]
	v_add_f16_e32 v5, v11, v31
	v_add_f16_e32 v5, v5, v33
	;; [unrolled: 1-line block ×5, first 2 shown]
	v_fma_f16 v5, v5, -0.5, v11
	v_sub_f16_e32 v8, v37, v40
	v_fma_f16 v9, v8, s7, v5
	v_sub_f16_e32 v12, v38, v39
	v_sub_f16_e32 v14, v31, v33
	;; [unrolled: 1-line block ×3, first 2 shown]
	v_fma_f16 v5, v8, s5, v5
	v_add_f16_e32 v14, v14, v24
	v_fma_f16 v5, v12, s4, v5
	v_fma_f16 v38, v14, s6, v5
	v_add_f16_e32 v5, v31, v35
	v_fma_f16 v9, v12, s10, v9
	v_fma_f16 v5, v5, -0.5, v11
	v_fma_f16 v37, v14, s6, v9
	v_fma_f16 v9, v12, s5, v5
	v_sub_f16_e32 v11, v33, v31
	v_sub_f16_e32 v14, v34, v35
	v_fma_f16 v5, v12, s7, v5
	v_add_f16_e32 v11, v11, v14
	v_fma_f16 v5, v8, s4, v5
	v_fma_f16 v33, v11, s6, v5
	v_add_f16_e32 v5, v10, v22
	v_add_f16_e32 v5, v5, v23
	;; [unrolled: 1-line block ×5, first 2 shown]
	v_fma_f16 v9, v8, s10, v9
	v_fma_f16 v5, v5, -0.5, v10
	v_sub_f16_e32 v8, v28, v32
	v_fma_f16 v31, v11, s6, v9
	v_fma_f16 v9, v8, s7, v5
	v_sub_f16_e32 v11, v29, v30
	v_sub_f16_e32 v12, v22, v23
	;; [unrolled: 1-line block ×3, first 2 shown]
	v_fma_f16 v5, v8, s5, v5
	v_add_f16_e32 v12, v12, v14
	v_fma_f16 v5, v11, s4, v5
	v_fma_f16 v29, v12, s6, v5
	v_add_f16_e32 v5, v22, v27
	v_fma_f16 v9, v11, s10, v9
	v_fma_f16 v5, v5, -0.5, v10
	v_fma_f16 v28, v12, s6, v9
	v_fma_f16 v9, v11, s5, v5
	v_sub_f16_e32 v10, v23, v22
	v_sub_f16_e32 v12, v25, v27
	v_fma_f16 v5, v11, s7, v5
	v_add_f16_e32 v10, v10, v12
	v_fma_f16 v5, v8, s4, v5
	v_fma_f16 v9, v8, s10, v9
	;; [unrolled: 1-line block ×3, first 2 shown]
	v_lshl_add_u32 v5, v3, 1, 0
	v_fma_f16 v27, v10, s6, v9
	s_waitcnt lgkmcnt(0)
	s_barrier
	ds_read_u16 v24, v5 offset:440
	ds_read_u16 v23, v5 offset:660
	;; [unrolled: 1-line block ×6, first 2 shown]
	ds_read_u16 v8, v4
	ds_read_u16 v25, v5 offset:1100
	ds_read_u16 v14, v4 offset:1760
	;; [unrolled: 1-line block ×4, first 2 shown]
	s_waitcnt lgkmcnt(0)
	s_barrier
	ds_write_b16 v41, v43
	ds_write_b16 v41, v37 offset:4
	ds_write_b16 v41, v31 offset:8
	;; [unrolled: 1-line block ×4, first 2 shown]
	ds_write_b16 v42, v34
	ds_write_b16 v42, v28 offset:4
	ds_write_b16 v42, v27 offset:8
	ds_write_b16 v42, v30 offset:12
	ds_write_b16 v42, v29 offset:16
	s_and_saveexec_b64 s[2:3], vcc
	s_cbranch_execz .LBB0_25
; %bb.24:
	v_add_f16_e32 v28, v15, v16
	v_fma_f16 v28, v28, -0.5, v6
	v_sub_f16_e32 v19, v19, v21
	s_mov_b32 s4, 0xbb9c
	v_fma_f16 v21, v19, s4, v28
	v_sub_f16_e32 v18, v18, v20
	s_mov_b32 s5, 0xb8b4
	s_movk_i32 s7, 0x3b9c
	v_fma_f16 v20, v18, s5, v21
	v_sub_f16_e32 v21, v13, v15
	v_sub_f16_e32 v29, v17, v16
	v_fma_f16 v28, v19, s7, v28
	s_movk_i32 s10, 0x38b4
	v_add_f16_e32 v21, v21, v29
	v_fma_f16 v28, v18, s10, v28
	v_fma_f16 v20, v21, s6, v20
	;; [unrolled: 1-line block ×3, first 2 shown]
	v_add_f16_e32 v28, v13, v17
	v_add_f16_e32 v27, v6, v13
	v_fma_f16 v6, v28, -0.5, v6
	v_add_f16_e32 v27, v27, v15
	v_fma_f16 v28, v18, s7, v6
	v_sub_f16_e32 v13, v15, v13
	v_sub_f16_e32 v15, v16, v17
	v_fma_f16 v6, v18, s4, v6
	v_fma_f16 v28, v19, s5, v28
	v_add_f16_e32 v13, v13, v15
	v_fma_f16 v6, v19, s10, v6
	v_fma_f16 v15, v13, s6, v28
	;; [unrolled: 1-line block ×3, first 2 shown]
	v_mul_u32_u24_e32 v13, 10, v36
	v_add_f16_e32 v27, v27, v16
	v_or_b32_e32 v7, v13, v7
	v_add_f16_e32 v27, v27, v17
	v_lshl_add_u32 v7, v7, 1, 0
	ds_write_b16 v7, v27
	ds_write_b16 v7, v20 offset:4
	ds_write_b16 v7, v15 offset:8
	;; [unrolled: 1-line block ×4, first 2 shown]
.LBB0_25:
	s_or_b64 exec, exec, s[2:3]
	s_movk_i32 s2, 0xcd
	v_mul_lo_u16_sdwa v6, v3, s2 dst_sel:DWORD dst_unused:UNUSED_PAD src0_sel:BYTE_0 src1_sel:DWORD
	v_lshrrev_b16_e32 v13, 11, v6
	v_mul_lo_u16_e32 v6, 10, v13
	v_sub_u16_e32 v19, v3, v6
	v_mov_b32_e32 v6, 10
	v_mul_u32_u24_sdwa v6, v19, v6 dst_sel:DWORD dst_unused:UNUSED_PAD src0_sel:BYTE_0 src1_sel:DWORD
	v_lshlrev_b32_e32 v20, 2, v6
	s_waitcnt lgkmcnt(0)
	s_barrier
	global_load_dwordx4 v[15:18], v20, s[8:9] offset:32
	global_load_dwordx4 v[27:30], v20, s[8:9] offset:48
	global_load_dwordx2 v[6:7], v20, s[8:9] offset:64
	ds_read_u16 v20, v5 offset:440
	ds_read_u16 v21, v5 offset:660
	ds_read_u16 v31, v5 offset:880
	ds_read_u16 v32, v5 offset:1100
	ds_read_u16 v33, v4
	ds_read_u16 v34, v4 offset:220
	ds_read_u16 v35, v4 offset:1320
	;; [unrolled: 1-line block ×6, first 2 shown]
	s_movk_i32 s2, 0x3abb
	s_movk_i32 s4, 0x36a6
	s_mov_b32 s6, 0xb08e
	s_mov_b32 s10, 0xb93d
	;; [unrolled: 1-line block ×3, first 2 shown]
	s_waitcnt vmcnt(0) lgkmcnt(0)
	s_barrier
	s_mov_b32 s3, 0xb853
	s_mov_b32 s5, 0xbb47
	;; [unrolled: 1-line block ×5, first 2 shown]
	s_movk_i32 s16, 0x3482
	s_movk_i32 s17, 0x3beb
	;; [unrolled: 1-line block ×4, first 2 shown]
	v_mul_f16_sdwa v40, v34, v15 dst_sel:DWORD dst_unused:UNUSED_PAD src0_sel:DWORD src1_sel:WORD_1
	v_mul_f16_sdwa v41, v26, v15 dst_sel:DWORD dst_unused:UNUSED_PAD src0_sel:DWORD src1_sel:WORD_1
	;; [unrolled: 1-line block ×15, first 2 shown]
	v_fma_f16 v26, v26, v15, -v40
	v_fma_f16 v15, v34, v15, v41
	v_mul_f16_sdwa v47, v22, v18 dst_sel:DWORD dst_unused:UNUSED_PAD src0_sel:DWORD src1_sel:WORD_1
	v_fma_f16 v24, v24, v16, -v42
	v_fma_f16 v16, v20, v16, v43
	v_fma_f16 v20, v23, v17, -v44
	v_fma_f16 v17, v21, v17, v45
	v_fma_f16 v21, v22, v18, -v46
	v_fma_f16 v22, v25, v27, -v48
	v_fma_f16 v23, v32, v27, v49
	v_fma_f16 v12, v12, v28, -v50
	v_fma_f16 v25, v35, v28, v51
	;; [unrolled: 2-line block ×4, first 2 shown]
	v_add_f16_e32 v29, v8, v26
	v_add_f16_e32 v30, v33, v15
	;; [unrolled: 1-line block ×4, first 2 shown]
	v_fma_f16 v18, v31, v18, v47
	v_add_f16_e32 v29, v29, v20
	v_add_f16_e32 v30, v30, v17
	;; [unrolled: 1-line block ×8, first 2 shown]
	v_mul_f16_sdwa v56, v38, v6 dst_sel:DWORD dst_unused:UNUSED_PAD src0_sel:DWORD src1_sel:WORD_1
	v_mul_f16_sdwa v57, v11, v6 dst_sel:DWORD dst_unused:UNUSED_PAD src0_sel:DWORD src1_sel:WORD_1
	v_mul_f16_sdwa v58, v39, v7 dst_sel:DWORD dst_unused:UNUSED_PAD src0_sel:DWORD src1_sel:WORD_1
	v_mul_f16_sdwa v59, v9, v7 dst_sel:DWORD dst_unused:UNUSED_PAD src0_sel:DWORD src1_sel:WORD_1
	v_add_f16_e32 v29, v29, v10
	v_add_f16_e32 v30, v30, v27
	v_fma_f16 v11, v11, v6, -v56
	v_fma_f16 v6, v38, v6, v57
	v_fma_f16 v9, v9, v7, -v58
	v_fma_f16 v7, v39, v7, v59
	v_add_f16_e32 v29, v29, v14
	v_add_f16_e32 v30, v30, v28
	;; [unrolled: 1-line block ×4, first 2 shown]
	v_sub_f16_e32 v26, v26, v9
	v_sub_f16_e32 v15, v15, v7
	v_add_f16_e32 v29, v29, v11
	v_add_f16_e32 v30, v30, v6
	v_mul_f16_e32 v34, 0xb853, v15
	v_mul_f16_e32 v35, 0xb853, v26
	v_add_f16_e32 v9, v29, v9
	v_add_f16_e32 v29, v30, v7
	v_mul_f16_e32 v30, 0xbb47, v15
	v_mul_f16_e32 v40, 0xbbeb, v15
	;; [unrolled: 1-line block ×4, first 2 shown]
	v_fma_f16 v36, v31, s2, -v34
	v_fma_f16 v37, v32, s2, v35
	v_fma_f16 v34, v31, s2, v34
	v_fma_f16 v7, v32, s2, -v35
	v_fma_f16 v35, v31, s4, -v30
	v_mul_f16_e32 v38, 0xbb47, v26
	v_fma_f16 v30, v31, s4, v30
	v_fma_f16 v41, v31, s6, -v40
	v_mul_f16_e32 v42, 0xbbeb, v26
	v_fma_f16 v40, v31, s6, v40
	;; [unrolled: 3-line block ×4, first 2 shown]
	v_add_f16_e32 v36, v8, v36
	v_add_f16_e32 v34, v8, v34
	;; [unrolled: 1-line block ×9, first 2 shown]
	v_fma_f16 v49, v32, s14, v26
	v_add_f16_e32 v8, v8, v15
	v_fma_f16 v15, v32, s14, -v26
	v_add_f16_e32 v26, v24, v11
	v_sub_f16_e32 v11, v24, v11
	v_fma_f16 v39, v32, s4, v38
	v_fma_f16 v38, v32, s4, -v38
	v_fma_f16 v43, v32, s6, v42
	v_fma_f16 v42, v32, s6, -v42
	v_fma_f16 v47, v32, s10, v46
	v_fma_f16 v46, v32, s10, -v46
	v_add_f16_e32 v31, v16, v6
	v_sub_f16_e32 v6, v16, v6
	v_mul_f16_e32 v32, 0xbb47, v11
	v_add_f16_e32 v37, v33, v37
	v_add_f16_e32 v7, v33, v7
	;; [unrolled: 1-line block ×10, first 2 shown]
	v_mul_f16_e32 v16, 0xbb47, v6
	v_fma_f16 v33, v31, s4, v32
	v_fma_f16 v32, v31, s4, -v32
	v_fma_f16 v24, v26, s4, -v16
	v_fma_f16 v16, v26, s4, v16
	v_add_f16_e32 v7, v32, v7
	v_mul_f16_e32 v32, 0xba0c, v6
	v_add_f16_e32 v16, v16, v34
	v_fma_f16 v34, v26, s10, -v32
	v_add_f16_e32 v34, v34, v35
	v_mul_f16_e32 v35, 0xba0c, v11
	v_fma_f16 v32, v26, s10, v32
	v_add_f16_e32 v24, v24, v36
	v_fma_f16 v36, v31, s10, v35
	v_add_f16_e32 v30, v32, v30
	v_fma_f16 v32, v31, s10, -v35
	v_mul_f16_e32 v35, 0x3482, v6
	v_add_f16_e32 v33, v33, v37
	v_fma_f16 v37, v26, s14, -v35
	v_fma_f16 v35, v26, s14, v35
	v_add_f16_e32 v32, v32, v38
	v_mul_f16_e32 v38, 0x3482, v11
	v_add_f16_e32 v35, v35, v40
	v_mul_f16_e32 v40, 0x3beb, v6
	v_add_f16_e32 v36, v36, v39
	v_add_f16_e32 v37, v37, v41
	v_fma_f16 v39, v31, s14, v38
	v_fma_f16 v38, v31, s14, -v38
	v_fma_f16 v41, v26, s6, -v40
	v_fma_f16 v40, v26, s6, v40
	v_mul_f16_e32 v6, 0x3853, v6
	v_add_f16_e32 v38, v38, v42
	v_mul_f16_e32 v42, 0x3beb, v11
	v_add_f16_e32 v40, v40, v44
	v_fma_f16 v44, v26, s2, -v6
	v_mul_f16_e32 v11, 0x3853, v11
	v_fma_f16 v6, v26, s2, v6
	v_add_f16_e32 v6, v6, v8
	v_fma_f16 v8, v31, s2, -v11
	v_add_f16_e32 v8, v8, v15
	v_add_f16_e32 v15, v17, v28
	v_sub_f16_e32 v17, v17, v28
	v_add_f16_e32 v41, v41, v45
	v_fma_f16 v45, v31, s2, v11
	v_add_f16_e32 v11, v20, v14
	v_sub_f16_e32 v14, v20, v14
	v_mul_f16_e32 v20, 0xbbeb, v17
	v_fma_f16 v26, v11, s6, -v20
	v_add_f16_e32 v24, v26, v24
	v_mul_f16_e32 v26, 0xbbeb, v14
	v_fma_f16 v20, v11, s6, v20
	v_add_f16_e32 v16, v20, v16
	v_fma_f16 v20, v15, s6, -v26
	v_add_f16_e32 v7, v20, v7
	v_mul_f16_e32 v20, 0x3482, v17
	v_add_f16_e32 v39, v39, v43
	v_fma_f16 v43, v31, s6, v42
	v_fma_f16 v42, v31, s6, -v42
	v_fma_f16 v28, v15, s6, v26
	v_fma_f16 v26, v11, s14, -v20
	v_mul_f16_e32 v31, 0x3482, v14
	v_fma_f16 v20, v11, s14, v20
	v_add_f16_e32 v28, v28, v33
	v_fma_f16 v33, v15, s14, v31
	v_add_f16_e32 v20, v20, v30
	v_fma_f16 v30, v15, s14, -v31
	v_mul_f16_e32 v31, 0x3b47, v17
	v_add_f16_e32 v30, v30, v32
	v_fma_f16 v32, v11, s4, -v31
	v_fma_f16 v31, v11, s4, v31
	v_add_f16_e32 v26, v26, v34
	v_mul_f16_e32 v34, 0x3b47, v14
	v_add_f16_e32 v31, v31, v35
	v_mul_f16_e32 v35, 0xb853, v17
	v_add_f16_e32 v33, v33, v36
	v_add_f16_e32 v32, v32, v37
	v_fma_f16 v36, v15, s4, v34
	v_fma_f16 v34, v15, s4, -v34
	v_fma_f16 v37, v11, s2, -v35
	v_fma_f16 v35, v11, s2, v35
	v_mul_f16_e32 v17, 0xba0c, v17
	v_add_f16_e32 v34, v34, v38
	v_mul_f16_e32 v38, 0xb853, v14
	v_add_f16_e32 v35, v35, v40
	v_fma_f16 v40, v11, s10, -v17
	v_mul_f16_e32 v14, 0xba0c, v14
	v_fma_f16 v11, v11, s10, v17
	v_add_f16_e32 v36, v36, v39
	v_add_f16_e32 v37, v37, v41
	v_fma_f16 v39, v15, s2, v38
	v_fma_f16 v38, v15, s2, -v38
	v_fma_f16 v41, v15, s10, v14
	v_add_f16_e32 v6, v11, v6
	v_fma_f16 v11, v15, s10, -v14
	v_sub_f16_e32 v15, v18, v27
	v_add_f16_e32 v8, v11, v8
	v_add_f16_e32 v11, v21, v10
	v_sub_f16_e32 v10, v21, v10
	v_mul_f16_e32 v17, 0xba0c, v15
	v_add_f16_e32 v14, v18, v27
	v_fma_f16 v18, v11, s10, -v17
	v_mul_f16_e32 v21, 0xba0c, v10
	v_fma_f16 v17, v11, s10, v17
	v_add_f16_e32 v16, v17, v16
	v_fma_f16 v17, v14, s10, -v21
	v_add_f16_e32 v7, v17, v7
	v_mul_f16_e32 v17, 0x3beb, v15
	v_add_f16_e32 v18, v18, v24
	v_fma_f16 v24, v14, s10, v21
	v_fma_f16 v21, v11, s6, -v17
	v_add_f16_e32 v21, v21, v26
	v_mul_f16_e32 v26, 0x3beb, v10
	v_fma_f16 v17, v11, s6, v17
	v_fma_f16 v27, v14, s6, v26
	v_add_f16_e32 v17, v17, v20
	v_fma_f16 v20, v14, s6, -v26
	v_mul_f16_e32 v26, 0xb853, v15
	v_add_f16_e32 v24, v24, v28
	v_add_f16_e32 v20, v20, v30
	v_fma_f16 v28, v11, s2, -v26
	v_mul_f16_e32 v30, 0xb853, v10
	v_fma_f16 v26, v11, s2, v26
	v_add_f16_e32 v28, v28, v32
	v_fma_f16 v32, v14, s2, v30
	v_add_f16_e32 v26, v26, v31
	v_fma_f16 v30, v14, s2, -v30
	v_mul_f16_e32 v31, 0xb482, v15
	v_add_f16_e32 v27, v27, v33
	v_add_f16_e32 v30, v30, v34
	v_fma_f16 v33, v11, s14, -v31
	v_mul_f16_e32 v34, 0xb482, v10
	v_mul_f16_e32 v10, 0x3b47, v10
	v_add_f16_e32 v32, v32, v36
	v_add_f16_e32 v33, v33, v37
	v_fma_f16 v36, v14, s14, v34
	v_fma_f16 v31, v11, s14, v31
	v_fma_f16 v34, v14, s14, -v34
	v_mul_f16_e32 v15, 0x3b47, v15
	v_fma_f16 v37, v14, s4, v10
	v_fma_f16 v10, v14, s4, -v10
	v_sub_f16_e32 v14, v23, v25
	v_add_f16_e32 v31, v31, v35
	v_fma_f16 v35, v11, s4, -v15
	v_fma_f16 v11, v11, s4, v15
	v_add_f16_e32 v8, v10, v8
	v_add_f16_e32 v10, v22, v12
	v_mul_f16_e32 v15, 0xb482, v14
	v_sub_f16_e32 v12, v22, v12
	v_fma_f16 v22, v10, s14, -v15
	v_add_f16_e32 v6, v11, v6
	v_add_f16_e32 v11, v23, v25
	v_add_f16_e32 v18, v22, v18
	v_mul_f16_e32 v22, 0xb482, v12
	v_fma_f16 v15, v10, s14, v15
	v_add_f16_e32 v15, v15, v16
	v_fma_f16 v16, v11, s14, -v22
	v_fma_f16 v23, v11, s14, v22
	v_add_f16_e32 v22, v16, v7
	v_mul_f16_e32 v7, 0x3853, v14
	v_fma_f16 v16, v10, s2, -v7
	v_add_f16_e32 v16, v16, v21
	v_mul_f16_e32 v21, 0x3853, v12
	v_fma_f16 v7, v10, s2, v7
	v_add_f16_e32 v7, v7, v17
	v_fma_f16 v17, v11, s2, -v21
	v_add_f16_e32 v17, v17, v20
	v_mul_f16_e32 v20, 0xba0c, v14
	v_add_f16_e32 v23, v23, v24
	v_fma_f16 v24, v11, s2, v21
	v_fma_f16 v21, v10, s10, -v20
	v_fma_f16 v20, v10, s10, v20
	v_mul_f16_e32 v25, 0xba0c, v12
	v_add_f16_e32 v20, v20, v26
	v_mul_f16_e32 v26, 0x3b47, v14
	v_add_f16_e32 v42, v42, v46
	v_add_f16_e32 v24, v24, v27
	;; [unrolled: 1-line block ×3, first 2 shown]
	v_fma_f16 v27, v11, s10, v25
	v_fma_f16 v25, v11, s10, -v25
	v_fma_f16 v28, v10, s4, -v26
	v_fma_f16 v26, v10, s4, v26
	v_mul_f16_e32 v14, 0xbbeb, v14
	v_add_f16_e32 v38, v38, v42
	v_add_f16_e32 v25, v25, v30
	v_mul_f16_e32 v30, 0x3b47, v12
	v_add_f16_e32 v26, v26, v31
	v_fma_f16 v31, v10, s6, -v14
	v_mul_f16_e32 v12, 0xbbeb, v12
	v_fma_f16 v10, v10, s6, v14
	v_add_f16_e32 v34, v34, v38
	v_add_f16_e32 v27, v27, v32
	v_fma_f16 v32, v11, s4, v30
	v_fma_f16 v30, v11, s4, -v30
	v_add_f16_e32 v6, v10, v6
	v_fma_f16 v10, v11, s6, -v12
	v_add_f16_e32 v44, v44, v48
	v_add_f16_e32 v30, v30, v34
	;; [unrolled: 1-line block ×3, first 2 shown]
	v_mov_b32_e32 v10, 1
	v_add_f16_e32 v40, v40, v44
	v_mul_u32_u24_e32 v8, 0xdc, v13
	v_lshlrev_b32_sdwa v10, v10, v19 dst_sel:DWORD dst_unused:UNUSED_PAD src0_sel:DWORD src1_sel:BYTE_0
	v_add_f16_e32 v35, v35, v40
	v_add3_u32 v19, 0, v8, v10
	v_add_f16_e32 v28, v28, v33
	v_add_f16_e32 v31, v31, v35
	v_fma_f16 v33, v11, s6, v12
	ds_write_b16 v19, v9
	ds_write_b16 v19, v18 offset:20
	ds_write_b16 v19, v16 offset:40
	;; [unrolled: 1-line block ×10, first 2 shown]
	s_waitcnt lgkmcnt(0)
	s_barrier
	ds_read_u16 v12, v5 offset:440
	ds_read_u16 v10, v5 offset:660
	ds_read_u16 v8, v5 offset:880
	ds_read_u16 v14, v4 offset:220
	ds_read_u16 v7, v4 offset:1320
	ds_read_u16 v11, v4 offset:1540
	ds_read_u16 v6, v4
	ds_read_u16 v9, v5 offset:1100
	ds_read_u16 v13, v4 offset:1760
	;; [unrolled: 1-line block ×4, first 2 shown]
	v_add_f16_e32 v43, v43, v47
	v_add_f16_e32 v45, v45, v49
	;; [unrolled: 1-line block ×8, first 2 shown]
	s_waitcnt lgkmcnt(0)
	s_barrier
	ds_write_b16 v19, v29
	ds_write_b16 v19, v23 offset:20
	ds_write_b16 v19, v24 offset:40
	ds_write_b16 v19, v27 offset:60
	ds_write_b16 v19, v32 offset:80
	ds_write_b16 v19, v33 offset:100
	ds_write_b16 v19, v34 offset:120
	ds_write_b16 v19, v30 offset:140
	ds_write_b16 v19, v25 offset:160
	ds_write_b16 v19, v17 offset:180
	ds_write_b16 v19, v22 offset:200
	s_waitcnt lgkmcnt(0)
	s_barrier
	s_and_saveexec_b64 s[20:21], s[0:1]
	s_cbranch_execz .LBB0_27
; %bb.26:
	v_mul_u32_u24_e32 v3, 10, v3
	v_lshlrev_b32_e32 v3, 2, v3
	global_load_dwordx2 v[25:26], v3, s[8:9] offset:464
	global_load_dwordx4 v[17:20], v3, s[8:9] offset:432
	global_load_dwordx4 v[21:24], v3, s[8:9] offset:448
	ds_read_u16 v3, v4 offset:2200
	ds_read_u16 v27, v4 offset:1980
	;; [unrolled: 1-line block ×6, first 2 shown]
	ds_read_u16 v4, v4
	ds_read_u16 v32, v5 offset:440
	ds_read_u16 v33, v5 offset:660
	;; [unrolled: 1-line block ×4, first 2 shown]
	s_movk_i32 s0, 0x3a0c
	s_waitcnt vmcnt(2)
	v_mul_f16_sdwa v35, v16, v26 dst_sel:DWORD dst_unused:UNUSED_PAD src0_sel:DWORD src1_sel:WORD_1
	s_waitcnt vmcnt(1)
	v_mul_f16_sdwa v36, v14, v17 dst_sel:DWORD dst_unused:UNUSED_PAD src0_sel:DWORD src1_sel:WORD_1
	s_waitcnt lgkmcnt(5)
	v_mul_f16_sdwa v37, v31, v17 dst_sel:DWORD dst_unused:UNUSED_PAD src0_sel:DWORD src1_sel:WORD_1
	v_mul_f16_sdwa v38, v3, v26 dst_sel:DWORD dst_unused:UNUSED_PAD src0_sel:DWORD src1_sel:WORD_1
	;; [unrolled: 1-line block ×4, first 2 shown]
	s_waitcnt vmcnt(0)
	v_mul_f16_sdwa v52, v9, v21 dst_sel:DWORD dst_unused:UNUSED_PAD src0_sel:DWORD src1_sel:WORD_1
	s_waitcnt lgkmcnt(0)
	v_mul_f16_sdwa v53, v5, v21 dst_sel:DWORD dst_unused:UNUSED_PAD src0_sel:DWORD src1_sel:WORD_1
	v_fma_f16 v3, v3, v26, v35
	v_fma_f16 v31, v31, v17, v36
	v_mul_f16_sdwa v41, v32, v18 dst_sel:DWORD dst_unused:UNUSED_PAD src0_sel:DWORD src1_sel:WORD_1
	v_mul_f16_sdwa v42, v27, v25 dst_sel:DWORD dst_unused:UNUSED_PAD src0_sel:DWORD src1_sel:WORD_1
	v_mul_f16_sdwa v43, v13, v24 dst_sel:DWORD dst_unused:UNUSED_PAD src0_sel:DWORD src1_sel:WORD_1
	v_mul_f16_sdwa v44, v10, v19 dst_sel:DWORD dst_unused:UNUSED_PAD src0_sel:DWORD src1_sel:WORD_1
	v_mul_f16_sdwa v45, v33, v19 dst_sel:DWORD dst_unused:UNUSED_PAD src0_sel:DWORD src1_sel:WORD_1
	v_mul_f16_sdwa v46, v28, v24 dst_sel:DWORD dst_unused:UNUSED_PAD src0_sel:DWORD src1_sel:WORD_1
	v_mul_f16_sdwa v47, v11, v23 dst_sel:DWORD dst_unused:UNUSED_PAD src0_sel:DWORD src1_sel:WORD_1
	v_mul_f16_sdwa v48, v8, v20 dst_sel:DWORD dst_unused:UNUSED_PAD src0_sel:DWORD src1_sel:WORD_1
	v_mul_f16_sdwa v49, v34, v20 dst_sel:DWORD dst_unused:UNUSED_PAD src0_sel:DWORD src1_sel:WORD_1
	v_mul_f16_sdwa v50, v29, v23 dst_sel:DWORD dst_unused:UNUSED_PAD src0_sel:DWORD src1_sel:WORD_1
	v_mul_f16_sdwa v51, v7, v22 dst_sel:DWORD dst_unused:UNUSED_PAD src0_sel:DWORD src1_sel:WORD_1
	v_mul_f16_sdwa v54, v30, v22 dst_sel:DWORD dst_unused:UNUSED_PAD src0_sel:DWORD src1_sel:WORD_1
	v_fma_f16 v14, v14, v17, -v37
	v_fma_f16 v16, v16, v26, -v38
	v_fma_f16 v17, v27, v25, v39
	v_fma_f16 v26, v32, v18, v40
	;; [unrolled: 1-line block ×3, first 2 shown]
	v_fma_f16 v9, v9, v21, -v53
	v_add_f16_e32 v21, v3, v31
	v_fma_f16 v12, v12, v18, -v41
	v_fma_f16 v15, v15, v25, -v42
	v_fma_f16 v18, v28, v24, v43
	v_fma_f16 v25, v33, v19, v44
	v_fma_f16 v10, v10, v19, -v45
	v_fma_f16 v13, v13, v24, -v46
	v_fma_f16 v19, v29, v23, v47
	v_fma_f16 v24, v34, v20, v48
	v_fma_f16 v8, v8, v20, -v49
	v_fma_f16 v11, v11, v23, -v50
	v_fma_f16 v20, v30, v22, v51
	v_fma_f16 v7, v7, v22, -v54
	v_sub_f16_e32 v22, v14, v16
	v_add_f16_e32 v23, v17, v26
	v_mul_f16_e32 v39, 0x3abb, v21
	v_sub_f16_e32 v27, v12, v15
	v_add_f16_e32 v28, v18, v25
	v_mul_f16_e32 v40, 0x36a6, v23
	v_fma_f16 v46, v22, s18, v39
	v_sub_f16_e32 v29, v10, v13
	v_add_f16_e32 v30, v19, v24
	v_mul_f16_e32 v41, 0xb08e, v28
	v_fma_f16 v47, v27, s19, v40
	v_add_f16_e32 v46, v4, v46
	v_sub_f16_e32 v32, v8, v11
	v_add_f16_e32 v33, v20, v5
	v_sub_f16_e32 v36, v31, v3
	v_mul_f16_e32 v42, 0xb93d, v30
	v_fma_f16 v48, v29, s17, v41
	v_add_f16_e32 v46, v46, v47
	v_sub_f16_e32 v34, v9, v7
	v_add_f16_e32 v35, v16, v14
	v_sub_f16_e32 v38, v26, v17
	v_mul_f16_e32 v43, 0xbbad, v33
	v_mul_f16_e32 v44, 0xb853, v36
	v_fma_f16 v49, v32, s0, v42
	v_add_f16_e32 v46, v46, v48
	v_add_f16_e32 v37, v15, v12
	v_mul_f16_e32 v45, 0xbb47, v38
	v_fma_f16 v50, v34, s16, v43
	v_fma_f16 v51, v35, s2, v44
	v_add_f16_e32 v46, v46, v49
	v_sub_f16_e32 v49, v25, v18
	v_fma_f16 v52, v37, s4, v45
	v_add_f16_e32 v51, v6, v51
	v_add_f16_e32 v46, v46, v50
	;; [unrolled: 1-line block ×3, first 2 shown]
	v_mul_f16_e32 v50, 0xbbeb, v49
	v_add_f16_e32 v47, v51, v52
	v_fma_f16 v51, v48, s6, v50
	v_sub_f16_e32 v52, v24, v19
	v_add_f16_e32 v47, v47, v51
	v_add_f16_e32 v51, v11, v8
	v_mul_f16_e32 v53, 0xba0c, v52
	v_fma_f16 v54, v51, s10, v53
	v_sub_f16_e32 v55, v5, v20
	v_add_f16_e32 v47, v47, v54
	v_add_f16_e32 v54, v7, v9
	v_mul_f16_e32 v56, 0xb482, v55
	v_fma_f16 v57, v54, s14, v56
	v_add_f16_e32 v47, v47, v57
	v_mul_f16_e32 v57, 0x36a6, v21
	v_fma_f16 v58, v22, s19, v57
	v_mul_f16_e32 v59, 0xb93d, v23
	v_add_f16_e32 v58, v4, v58
	v_fma_f16 v60, v27, s0, v59
	v_add_f16_e32 v58, v58, v60
	v_mul_f16_e32 v60, 0xbbad, v28
	v_fma_f16 v61, v29, s15, v60
	v_add_f16_e32 v58, v58, v61
	v_mul_f16_e32 v61, 0xb08e, v30
	v_fma_f16 v62, v32, s7, v61
	v_add_f16_e32 v58, v58, v62
	v_mul_f16_e32 v62, 0x3abb, v33
	v_fma_f16 v63, v34, s3, v62
	v_add_f16_e32 v58, v58, v63
	v_mul_f16_e32 v63, 0xbb47, v36
	v_fma_f16 v64, v35, s4, v63
	v_mul_f16_e32 v65, 0xba0c, v38
	v_add_f16_e32 v64, v6, v64
	v_fma_f16 v66, v37, s10, v65
	v_add_f16_e32 v64, v64, v66
	v_mul_f16_e32 v66, 0x3482, v49
	v_fma_f16 v67, v48, s14, v66
	v_add_f16_e32 v64, v64, v67
	v_mul_f16_e32 v67, 0x3beb, v52
	v_fma_f16 v68, v51, s6, v67
	;; [unrolled: 15-line block ×6, first 2 shown]
	v_add_f16_e32 v88, v88, v92
	v_mul_f16_e32 v92, 0x3b47, v55
	v_fma_f16 v93, v54, s4, v92
	v_mul_f16_e32 v21, 0xbbad, v21
	v_add_f16_e32 v88, v88, v93
	v_fma_f16 v93, v22, s16, v21
	v_mul_f16_e32 v23, 0x3abb, v23
	v_fma_f16 v21, v22, s15, v21
	v_fma_f16 v94, v27, s3, v23
	v_mul_f16_e32 v28, 0xb93d, v28
	v_add_f16_e32 v21, v4, v21
	v_fma_f16 v23, v27, s18, v23
	v_mul_f16_e32 v30, 0x36a6, v30
	v_add_f16_e32 v21, v21, v23
	;; [unrolled: 3-line block ×4, first 2 shown]
	v_fma_f16 v23, v34, s7, v33
	v_add_f16_e32 v93, v4, v93
	v_mul_f16_e32 v38, 0x3853, v38
	v_add_f16_e32 v21, v21, v23
	v_fma_f16 v23, v35, s14, -v36
	v_add_f16_e32 v93, v93, v94
	v_fma_f16 v94, v29, s0, v28
	v_mul_f16_e32 v49, 0xba0c, v49
	v_add_f16_e32 v23, v6, v23
	v_fma_f16 v28, v37, s2, -v38
	v_mul_f16_e32 v52, 0x3b47, v52
	v_add_f16_e32 v23, v23, v28
	v_fma_f16 v28, v48, s10, -v49
	v_mul_f16_e32 v55, 0xbbeb, v55
	v_add_f16_e32 v23, v23, v28
	v_fma_f16 v28, v51, s4, -v52
	v_add_f16_e32 v23, v23, v28
	v_fma_f16 v28, v54, s6, -v55
	v_add_f16_e32 v23, v23, v28
	v_fma_f16 v28, v22, s11, v81
	v_add_f16_e32 v93, v93, v94
	v_fma_f16 v94, v32, s5, v30
	;; [unrolled: 2-line block ×6, first 2 shown]
	v_add_f16_e32 v28, v28, v30
	v_fma_f16 v30, v35, s10, -v87
	v_add_f16_e32 v93, v93, v94
	v_fma_f16 v94, v34, s17, v33
	v_add_f16_e32 v30, v6, v30
	v_fma_f16 v33, v37, s6, -v89
	v_add_f16_e32 v30, v30, v33
	v_fma_f16 v33, v48, s2, -v90
	;; [unrolled: 2-line block ×4, first 2 shown]
	v_add_f16_e32 v30, v30, v33
	v_fma_f16 v33, v22, s7, v69
	v_add_f16_e32 v93, v93, v94
	v_fma_f16 v94, v35, s14, v36
	;; [unrolled: 2-line block ×6, first 2 shown]
	v_add_f16_e32 v33, v33, v36
	v_fma_f16 v36, v35, s6, -v75
	v_fma_f16 v95, v37, s2, v38
	v_add_f16_e32 v36, v6, v36
	v_fma_f16 v38, v37, s14, -v77
	v_add_f16_e32 v36, v36, v38
	v_fma_f16 v38, v48, s4, -v78
	;; [unrolled: 2-line block ×4, first 2 shown]
	v_add_f16_e32 v94, v6, v94
	v_add_f16_e32 v36, v36, v38
	v_fma_f16 v38, v22, s5, v57
	v_fma_f16 v22, v22, s3, v39
	v_add_f16_e32 v94, v94, v95
	v_fma_f16 v95, v48, s10, v49
	v_add_f16_e32 v38, v4, v38
	v_fma_f16 v49, v27, s11, v59
	v_fma_f16 v27, v27, s5, v40
	v_add_f16_e32 v22, v4, v22
	v_add_f16_e32 v38, v38, v49
	v_fma_f16 v49, v29, s16, v60
	v_add_f16_e32 v22, v22, v27
	v_fma_f16 v27, v29, s7, v41
	;; [unrolled: 2-line block ×4, first 2 shown]
	v_add_f16_e32 v4, v4, v31
	v_add_f16_e32 v38, v38, v49
	v_fma_f16 v49, v34, s18, v62
	v_add_f16_e32 v22, v22, v27
	v_fma_f16 v27, v34, s15, v43
	v_add_f16_e32 v4, v4, v26
	v_add_f16_e32 v38, v38, v49
	v_fma_f16 v49, v35, s4, -v63
	v_add_f16_e32 v22, v22, v27
	v_fma_f16 v27, v35, s2, -v44
	v_add_f16_e32 v4, v4, v25
	v_add_f16_e32 v49, v6, v49
	;; [unrolled: 1-line block ×15, first 2 shown]
	v_fma_f16 v29, v37, s4, -v45
	v_add_f16_e32 v6, v11, v6
	v_add_f16_e32 v4, v3, v4
	v_mov_b32_e32 v3, 0
	v_mov_b32_e32 v5, s13
	v_add_co_u32_e32 v7, vcc, s12, v0
	v_add_f16_e32 v94, v94, v95
	v_fma_f16 v95, v51, s4, v52
	v_fma_f16 v52, v37, s10, -v65
	v_add_f16_e32 v27, v27, v29
	v_fma_f16 v29, v48, s6, -v50
	v_add_f16_e32 v6, v13, v6
	v_addc_co_u32_e32 v5, vcc, v5, v1, vcc
	v_lshlrev_b64 v[0:1], 2, v[2:3]
	v_add_f16_e32 v49, v49, v52
	v_fma_f16 v52, v48, s14, -v66
	v_add_f16_e32 v27, v27, v29
	v_fma_f16 v29, v51, s10, -v53
	v_add_f16_e32 v6, v15, v6
	v_add_f16_e32 v49, v49, v52
	v_fma_f16 v52, v51, s6, -v67
	v_add_f16_e32 v27, v27, v29
	v_fma_f16 v29, v54, s14, -v56
	v_add_f16_e32 v6, v16, v6
	v_add_co_u32_e32 v0, vcc, v7, v0
	v_add_f16_e32 v49, v49, v52
	v_fma_f16 v52, v54, s2, -v68
	v_add_f16_e32 v27, v27, v29
	v_addc_co_u32_e32 v1, vcc, v5, v1, vcc
	v_pack_b32_f16 v2, v6, v4
	v_add_f16_e32 v49, v49, v52
	global_store_dword v[0:1], v2, off
	v_pack_b32_f16 v2, v27, v22
	global_store_dword v[0:1], v2, off offset:440
	v_pack_b32_f16 v2, v49, v38
	global_store_dword v[0:1], v2, off offset:880
	v_pack_b32_f16 v2, v36, v33
	v_add_f16_e32 v94, v94, v95
	v_fma_f16 v95, v54, s6, v55
	global_store_dword v[0:1], v2, off offset:1320
	v_pack_b32_f16 v2, v30, v28
	v_add_f16_e32 v94, v94, v95
	global_store_dword v[0:1], v2, off offset:1760
	v_pack_b32_f16 v2, v23, v21
	global_store_dword v[0:1], v2, off offset:2200
	v_pack_b32_f16 v2, v94, v93
	;; [unrolled: 2-line block ×5, first 2 shown]
	global_store_dword v[0:1], v2, off offset:3960
	v_add_co_u32_e32 v0, vcc, 0x1000, v0
	v_pack_b32_f16 v2, v47, v46
	v_addc_co_u32_e32 v1, vcc, 0, v1, vcc
	global_store_dword v[0:1], v2, off offset:304
.LBB0_27:
	s_endpgm
	.section	.rodata,"a",@progbits
	.p2align	6, 0x0
	.amdhsa_kernel fft_rtc_fwd_len1210_factors_2_5_11_11_wgs_110_tpt_110_halfLds_half_ip_CI_unitstride_sbrr_dirReg
		.amdhsa_group_segment_fixed_size 0
		.amdhsa_private_segment_fixed_size 0
		.amdhsa_kernarg_size 88
		.amdhsa_user_sgpr_count 6
		.amdhsa_user_sgpr_private_segment_buffer 1
		.amdhsa_user_sgpr_dispatch_ptr 0
		.amdhsa_user_sgpr_queue_ptr 0
		.amdhsa_user_sgpr_kernarg_segment_ptr 1
		.amdhsa_user_sgpr_dispatch_id 0
		.amdhsa_user_sgpr_flat_scratch_init 0
		.amdhsa_user_sgpr_private_segment_size 0
		.amdhsa_uses_dynamic_stack 0
		.amdhsa_system_sgpr_private_segment_wavefront_offset 0
		.amdhsa_system_sgpr_workgroup_id_x 1
		.amdhsa_system_sgpr_workgroup_id_y 0
		.amdhsa_system_sgpr_workgroup_id_z 0
		.amdhsa_system_sgpr_workgroup_info 0
		.amdhsa_system_vgpr_workitem_id 0
		.amdhsa_next_free_vgpr 96
		.amdhsa_next_free_sgpr 22
		.amdhsa_reserve_vcc 1
		.amdhsa_reserve_flat_scratch 0
		.amdhsa_float_round_mode_32 0
		.amdhsa_float_round_mode_16_64 0
		.amdhsa_float_denorm_mode_32 3
		.amdhsa_float_denorm_mode_16_64 3
		.amdhsa_dx10_clamp 1
		.amdhsa_ieee_mode 1
		.amdhsa_fp16_overflow 0
		.amdhsa_exception_fp_ieee_invalid_op 0
		.amdhsa_exception_fp_denorm_src 0
		.amdhsa_exception_fp_ieee_div_zero 0
		.amdhsa_exception_fp_ieee_overflow 0
		.amdhsa_exception_fp_ieee_underflow 0
		.amdhsa_exception_fp_ieee_inexact 0
		.amdhsa_exception_int_div_zero 0
	.end_amdhsa_kernel
	.text
.Lfunc_end0:
	.size	fft_rtc_fwd_len1210_factors_2_5_11_11_wgs_110_tpt_110_halfLds_half_ip_CI_unitstride_sbrr_dirReg, .Lfunc_end0-fft_rtc_fwd_len1210_factors_2_5_11_11_wgs_110_tpt_110_halfLds_half_ip_CI_unitstride_sbrr_dirReg
                                        ; -- End function
	.section	.AMDGPU.csdata,"",@progbits
; Kernel info:
; codeLenInByte = 9184
; NumSgprs: 26
; NumVgprs: 96
; ScratchSize: 0
; MemoryBound: 0
; FloatMode: 240
; IeeeMode: 1
; LDSByteSize: 0 bytes/workgroup (compile time only)
; SGPRBlocks: 3
; VGPRBlocks: 23
; NumSGPRsForWavesPerEU: 26
; NumVGPRsForWavesPerEU: 96
; Occupancy: 2
; WaveLimiterHint : 1
; COMPUTE_PGM_RSRC2:SCRATCH_EN: 0
; COMPUTE_PGM_RSRC2:USER_SGPR: 6
; COMPUTE_PGM_RSRC2:TRAP_HANDLER: 0
; COMPUTE_PGM_RSRC2:TGID_X_EN: 1
; COMPUTE_PGM_RSRC2:TGID_Y_EN: 0
; COMPUTE_PGM_RSRC2:TGID_Z_EN: 0
; COMPUTE_PGM_RSRC2:TIDIG_COMP_CNT: 0
	.type	__hip_cuid_4f3d3c4039dd6827,@object ; @__hip_cuid_4f3d3c4039dd6827
	.section	.bss,"aw",@nobits
	.globl	__hip_cuid_4f3d3c4039dd6827
__hip_cuid_4f3d3c4039dd6827:
	.byte	0                               ; 0x0
	.size	__hip_cuid_4f3d3c4039dd6827, 1

	.ident	"AMD clang version 19.0.0git (https://github.com/RadeonOpenCompute/llvm-project roc-6.4.0 25133 c7fe45cf4b819c5991fe208aaa96edf142730f1d)"
	.section	".note.GNU-stack","",@progbits
	.addrsig
	.addrsig_sym __hip_cuid_4f3d3c4039dd6827
	.amdgpu_metadata
---
amdhsa.kernels:
  - .args:
      - .actual_access:  read_only
        .address_space:  global
        .offset:         0
        .size:           8
        .value_kind:     global_buffer
      - .offset:         8
        .size:           8
        .value_kind:     by_value
      - .actual_access:  read_only
        .address_space:  global
        .offset:         16
        .size:           8
        .value_kind:     global_buffer
      - .actual_access:  read_only
        .address_space:  global
        .offset:         24
        .size:           8
        .value_kind:     global_buffer
      - .offset:         32
        .size:           8
        .value_kind:     by_value
      - .actual_access:  read_only
        .address_space:  global
        .offset:         40
        .size:           8
        .value_kind:     global_buffer
      - .actual_access:  read_only
        .address_space:  global
        .offset:         48
        .size:           8
        .value_kind:     global_buffer
      - .offset:         56
        .size:           4
        .value_kind:     by_value
      - .actual_access:  read_only
        .address_space:  global
        .offset:         64
        .size:           8
        .value_kind:     global_buffer
      - .actual_access:  read_only
        .address_space:  global
        .offset:         72
        .size:           8
        .value_kind:     global_buffer
      - .address_space:  global
        .offset:         80
        .size:           8
        .value_kind:     global_buffer
    .group_segment_fixed_size: 0
    .kernarg_segment_align: 8
    .kernarg_segment_size: 88
    .language:       OpenCL C
    .language_version:
      - 2
      - 0
    .max_flat_workgroup_size: 110
    .name:           fft_rtc_fwd_len1210_factors_2_5_11_11_wgs_110_tpt_110_halfLds_half_ip_CI_unitstride_sbrr_dirReg
    .private_segment_fixed_size: 0
    .sgpr_count:     26
    .sgpr_spill_count: 0
    .symbol:         fft_rtc_fwd_len1210_factors_2_5_11_11_wgs_110_tpt_110_halfLds_half_ip_CI_unitstride_sbrr_dirReg.kd
    .uniform_work_group_size: 1
    .uses_dynamic_stack: false
    .vgpr_count:     96
    .vgpr_spill_count: 0
    .wavefront_size: 64
amdhsa.target:   amdgcn-amd-amdhsa--gfx906
amdhsa.version:
  - 1
  - 2
...

	.end_amdgpu_metadata
